;; amdgpu-corpus repo=ROCm/rocFFT kind=compiled arch=gfx1201 opt=O3
	.text
	.amdgcn_target "amdgcn-amd-amdhsa--gfx1201"
	.amdhsa_code_object_version 6
	.protected	fft_rtc_back_len1715_factors_5_7_7_7_wgs_245_tpt_245_halfLds_dp_op_CI_CI_unitstride_sbrr_dirReg ; -- Begin function fft_rtc_back_len1715_factors_5_7_7_7_wgs_245_tpt_245_halfLds_dp_op_CI_CI_unitstride_sbrr_dirReg
	.globl	fft_rtc_back_len1715_factors_5_7_7_7_wgs_245_tpt_245_halfLds_dp_op_CI_CI_unitstride_sbrr_dirReg
	.p2align	8
	.type	fft_rtc_back_len1715_factors_5_7_7_7_wgs_245_tpt_245_halfLds_dp_op_CI_CI_unitstride_sbrr_dirReg,@function
fft_rtc_back_len1715_factors_5_7_7_7_wgs_245_tpt_245_halfLds_dp_op_CI_CI_unitstride_sbrr_dirReg: ; @fft_rtc_back_len1715_factors_5_7_7_7_wgs_245_tpt_245_halfLds_dp_op_CI_CI_unitstride_sbrr_dirReg
; %bb.0:
	s_clause 0x2
	s_load_b128 s[8:11], s[0:1], 0x0
	s_load_b128 s[4:7], s[0:1], 0x58
	;; [unrolled: 1-line block ×3, first 2 shown]
	v_mul_u32_u24_e32 v1, 0x10c, v0
	v_mov_b32_e32 v4, 0
	v_mov_b32_e32 v5, 0
	s_delay_alu instid0(VALU_DEP_3) | instskip(NEXT) | instid1(VALU_DEP_1)
	v_lshrrev_b32_e32 v2, 16, v1
	v_dual_mov_b32 v1, 0 :: v_dual_add_nc_u32 v6, ttmp9, v2
	s_delay_alu instid0(VALU_DEP_1) | instskip(SKIP_2) | instid1(VALU_DEP_1)
	v_mov_b32_e32 v7, v1
	s_wait_kmcnt 0x0
	v_cmp_lt_u64_e64 s2, s[10:11], 2
	s_and_b32 vcc_lo, exec_lo, s2
	s_cbranch_vccnz .LBB0_8
; %bb.1:
	s_load_b64 s[2:3], s[0:1], 0x10
	v_mov_b32_e32 v4, 0
	v_mov_b32_e32 v5, 0
	s_add_nc_u64 s[16:17], s[14:15], 8
	s_add_nc_u64 s[18:19], s[12:13], 8
	s_mov_b64 s[20:21], 1
	s_delay_alu instid0(VALU_DEP_1)
	v_dual_mov_b32 v41, v5 :: v_dual_mov_b32 v40, v4
	s_wait_kmcnt 0x0
	s_add_nc_u64 s[22:23], s[2:3], 8
	s_mov_b32 s3, 0
.LBB0_2:                                ; =>This Inner Loop Header: Depth=1
	s_load_b64 s[24:25], s[22:23], 0x0
                                        ; implicit-def: $vgpr42_vgpr43
	s_mov_b32 s2, exec_lo
	s_wait_kmcnt 0x0
	v_or_b32_e32 v2, s25, v7
	s_delay_alu instid0(VALU_DEP_1)
	v_cmpx_ne_u64_e32 0, v[1:2]
	s_wait_alu 0xfffe
	s_xor_b32 s26, exec_lo, s2
	s_cbranch_execz .LBB0_4
; %bb.3:                                ;   in Loop: Header=BB0_2 Depth=1
	s_cvt_f32_u32 s2, s24
	s_cvt_f32_u32 s27, s25
	s_sub_nc_u64 s[30:31], 0, s[24:25]
	s_wait_alu 0xfffe
	s_delay_alu instid0(SALU_CYCLE_1) | instskip(SKIP_1) | instid1(SALU_CYCLE_2)
	s_fmamk_f32 s2, s27, 0x4f800000, s2
	s_wait_alu 0xfffe
	v_s_rcp_f32 s2, s2
	s_delay_alu instid0(TRANS32_DEP_1) | instskip(SKIP_1) | instid1(SALU_CYCLE_2)
	s_mul_f32 s2, s2, 0x5f7ffffc
	s_wait_alu 0xfffe
	s_mul_f32 s27, s2, 0x2f800000
	s_wait_alu 0xfffe
	s_delay_alu instid0(SALU_CYCLE_2) | instskip(SKIP_1) | instid1(SALU_CYCLE_2)
	s_trunc_f32 s27, s27
	s_wait_alu 0xfffe
	s_fmamk_f32 s2, s27, 0xcf800000, s2
	s_cvt_u32_f32 s29, s27
	s_wait_alu 0xfffe
	s_delay_alu instid0(SALU_CYCLE_1) | instskip(SKIP_1) | instid1(SALU_CYCLE_2)
	s_cvt_u32_f32 s28, s2
	s_wait_alu 0xfffe
	s_mul_u64 s[34:35], s[30:31], s[28:29]
	s_wait_alu 0xfffe
	s_mul_hi_u32 s37, s28, s35
	s_mul_i32 s36, s28, s35
	s_mul_hi_u32 s2, s28, s34
	s_mul_i32 s33, s29, s34
	s_wait_alu 0xfffe
	s_add_nc_u64 s[36:37], s[2:3], s[36:37]
	s_mul_hi_u32 s27, s29, s34
	s_mul_hi_u32 s38, s29, s35
	s_add_co_u32 s2, s36, s33
	s_wait_alu 0xfffe
	s_add_co_ci_u32 s2, s37, s27
	s_mul_i32 s34, s29, s35
	s_add_co_ci_u32 s35, s38, 0
	s_wait_alu 0xfffe
	s_add_nc_u64 s[34:35], s[2:3], s[34:35]
	s_wait_alu 0xfffe
	v_add_co_u32 v2, s2, s28, s34
	s_delay_alu instid0(VALU_DEP_1) | instskip(SKIP_1) | instid1(VALU_DEP_1)
	s_cmp_lg_u32 s2, 0
	s_add_co_ci_u32 s29, s29, s35
	v_readfirstlane_b32 s28, v2
	s_wait_alu 0xfffe
	s_delay_alu instid0(VALU_DEP_1)
	s_mul_u64 s[30:31], s[30:31], s[28:29]
	s_wait_alu 0xfffe
	s_mul_hi_u32 s35, s28, s31
	s_mul_i32 s34, s28, s31
	s_mul_hi_u32 s2, s28, s30
	s_mul_i32 s33, s29, s30
	s_wait_alu 0xfffe
	s_add_nc_u64 s[34:35], s[2:3], s[34:35]
	s_mul_hi_u32 s27, s29, s30
	s_mul_hi_u32 s28, s29, s31
	s_wait_alu 0xfffe
	s_add_co_u32 s2, s34, s33
	s_add_co_ci_u32 s2, s35, s27
	s_mul_i32 s30, s29, s31
	s_add_co_ci_u32 s31, s28, 0
	s_wait_alu 0xfffe
	s_add_nc_u64 s[30:31], s[2:3], s[30:31]
	s_wait_alu 0xfffe
	v_add_co_u32 v8, s2, v2, s30
	s_delay_alu instid0(VALU_DEP_1) | instskip(SKIP_1) | instid1(VALU_DEP_1)
	s_cmp_lg_u32 s2, 0
	s_add_co_ci_u32 s2, s29, s31
	v_mul_hi_u32 v12, v6, v8
	s_wait_alu 0xfffe
	v_mad_co_u64_u32 v[2:3], null, v6, s2, 0
	v_mad_co_u64_u32 v[8:9], null, v7, v8, 0
	;; [unrolled: 1-line block ×3, first 2 shown]
	s_delay_alu instid0(VALU_DEP_3) | instskip(SKIP_1) | instid1(VALU_DEP_4)
	v_add_co_u32 v2, vcc_lo, v12, v2
	s_wait_alu 0xfffd
	v_add_co_ci_u32_e32 v3, vcc_lo, 0, v3, vcc_lo
	s_delay_alu instid0(VALU_DEP_2) | instskip(SKIP_1) | instid1(VALU_DEP_2)
	v_add_co_u32 v2, vcc_lo, v2, v8
	s_wait_alu 0xfffd
	v_add_co_ci_u32_e32 v2, vcc_lo, v3, v9, vcc_lo
	s_wait_alu 0xfffd
	v_add_co_ci_u32_e32 v3, vcc_lo, 0, v11, vcc_lo
	s_delay_alu instid0(VALU_DEP_2) | instskip(SKIP_1) | instid1(VALU_DEP_2)
	v_add_co_u32 v8, vcc_lo, v2, v10
	s_wait_alu 0xfffd
	v_add_co_ci_u32_e32 v9, vcc_lo, 0, v3, vcc_lo
	s_delay_alu instid0(VALU_DEP_2) | instskip(SKIP_1) | instid1(VALU_DEP_3)
	v_mul_lo_u32 v10, s25, v8
	v_mad_co_u64_u32 v[2:3], null, s24, v8, 0
	v_mul_lo_u32 v11, s24, v9
	s_delay_alu instid0(VALU_DEP_2) | instskip(NEXT) | instid1(VALU_DEP_2)
	v_sub_co_u32 v2, vcc_lo, v6, v2
	v_add3_u32 v3, v3, v11, v10
	s_delay_alu instid0(VALU_DEP_1) | instskip(SKIP_1) | instid1(VALU_DEP_1)
	v_sub_nc_u32_e32 v10, v7, v3
	s_wait_alu 0xfffd
	v_subrev_co_ci_u32_e64 v10, s2, s25, v10, vcc_lo
	v_add_co_u32 v11, s2, v8, 2
	s_wait_alu 0xf1ff
	v_add_co_ci_u32_e64 v12, s2, 0, v9, s2
	v_sub_co_u32 v13, s2, v2, s24
	v_sub_co_ci_u32_e32 v3, vcc_lo, v7, v3, vcc_lo
	s_wait_alu 0xf1ff
	v_subrev_co_ci_u32_e64 v10, s2, 0, v10, s2
	s_delay_alu instid0(VALU_DEP_3) | instskip(NEXT) | instid1(VALU_DEP_3)
	v_cmp_le_u32_e32 vcc_lo, s24, v13
	v_cmp_eq_u32_e64 s2, s25, v3
	s_wait_alu 0xfffd
	v_cndmask_b32_e64 v13, 0, -1, vcc_lo
	v_cmp_le_u32_e32 vcc_lo, s25, v10
	s_wait_alu 0xfffd
	v_cndmask_b32_e64 v14, 0, -1, vcc_lo
	v_cmp_le_u32_e32 vcc_lo, s24, v2
	;; [unrolled: 3-line block ×3, first 2 shown]
	s_wait_alu 0xfffd
	v_cndmask_b32_e64 v15, 0, -1, vcc_lo
	v_cmp_eq_u32_e32 vcc_lo, s25, v10
	s_wait_alu 0xf1ff
	s_delay_alu instid0(VALU_DEP_2)
	v_cndmask_b32_e64 v2, v15, v2, s2
	s_wait_alu 0xfffd
	v_cndmask_b32_e32 v10, v14, v13, vcc_lo
	v_add_co_u32 v13, vcc_lo, v8, 1
	s_wait_alu 0xfffd
	v_add_co_ci_u32_e32 v14, vcc_lo, 0, v9, vcc_lo
	s_delay_alu instid0(VALU_DEP_3) | instskip(SKIP_1) | instid1(VALU_DEP_2)
	v_cmp_ne_u32_e32 vcc_lo, 0, v10
	s_wait_alu 0xfffd
	v_dual_cndmask_b32 v3, v14, v12 :: v_dual_cndmask_b32 v10, v13, v11
	v_cmp_ne_u32_e32 vcc_lo, 0, v2
	s_wait_alu 0xfffd
	s_delay_alu instid0(VALU_DEP_2)
	v_dual_cndmask_b32 v43, v9, v3 :: v_dual_cndmask_b32 v42, v8, v10
.LBB0_4:                                ;   in Loop: Header=BB0_2 Depth=1
	s_wait_alu 0xfffe
	s_and_not1_saveexec_b32 s2, s26
	s_cbranch_execz .LBB0_6
; %bb.5:                                ;   in Loop: Header=BB0_2 Depth=1
	v_cvt_f32_u32_e32 v2, s24
	s_sub_co_i32 s26, 0, s24
	v_mov_b32_e32 v43, v1
	s_delay_alu instid0(VALU_DEP_2) | instskip(NEXT) | instid1(TRANS32_DEP_1)
	v_rcp_iflag_f32_e32 v2, v2
	v_mul_f32_e32 v2, 0x4f7ffffe, v2
	s_delay_alu instid0(VALU_DEP_1) | instskip(SKIP_1) | instid1(VALU_DEP_1)
	v_cvt_u32_f32_e32 v2, v2
	s_wait_alu 0xfffe
	v_mul_lo_u32 v3, s26, v2
	s_delay_alu instid0(VALU_DEP_1) | instskip(NEXT) | instid1(VALU_DEP_1)
	v_mul_hi_u32 v3, v2, v3
	v_add_nc_u32_e32 v2, v2, v3
	s_delay_alu instid0(VALU_DEP_1) | instskip(NEXT) | instid1(VALU_DEP_1)
	v_mul_hi_u32 v2, v6, v2
	v_mul_lo_u32 v3, v2, s24
	v_add_nc_u32_e32 v8, 1, v2
	s_delay_alu instid0(VALU_DEP_2) | instskip(NEXT) | instid1(VALU_DEP_1)
	v_sub_nc_u32_e32 v3, v6, v3
	v_subrev_nc_u32_e32 v9, s24, v3
	v_cmp_le_u32_e32 vcc_lo, s24, v3
	s_wait_alu 0xfffd
	s_delay_alu instid0(VALU_DEP_2) | instskip(NEXT) | instid1(VALU_DEP_1)
	v_dual_cndmask_b32 v3, v3, v9 :: v_dual_cndmask_b32 v2, v2, v8
	v_cmp_le_u32_e32 vcc_lo, s24, v3
	s_delay_alu instid0(VALU_DEP_2) | instskip(SKIP_1) | instid1(VALU_DEP_1)
	v_add_nc_u32_e32 v8, 1, v2
	s_wait_alu 0xfffd
	v_cndmask_b32_e32 v42, v2, v8, vcc_lo
.LBB0_6:                                ;   in Loop: Header=BB0_2 Depth=1
	s_wait_alu 0xfffe
	s_or_b32 exec_lo, exec_lo, s2
	v_mul_lo_u32 v8, v43, s24
	s_delay_alu instid0(VALU_DEP_2)
	v_mul_lo_u32 v9, v42, s25
	s_load_b64 s[26:27], s[18:19], 0x0
	v_mad_co_u64_u32 v[2:3], null, v42, s24, 0
	s_load_b64 s[24:25], s[16:17], 0x0
	s_add_nc_u64 s[20:21], s[20:21], 1
	s_add_nc_u64 s[16:17], s[16:17], 8
	s_wait_alu 0xfffe
	v_cmp_ge_u64_e64 s2, s[20:21], s[10:11]
	s_add_nc_u64 s[18:19], s[18:19], 8
	s_add_nc_u64 s[22:23], s[22:23], 8
	v_add3_u32 v3, v3, v9, v8
	v_sub_co_u32 v2, vcc_lo, v6, v2
	s_wait_alu 0xfffd
	s_delay_alu instid0(VALU_DEP_2) | instskip(SKIP_2) | instid1(VALU_DEP_1)
	v_sub_co_ci_u32_e32 v3, vcc_lo, v7, v3, vcc_lo
	s_and_b32 vcc_lo, exec_lo, s2
	s_wait_kmcnt 0x0
	v_mul_lo_u32 v6, s26, v3
	v_mul_lo_u32 v7, s27, v2
	v_mad_co_u64_u32 v[4:5], null, s26, v2, v[4:5]
	v_mul_lo_u32 v3, s24, v3
	v_mul_lo_u32 v8, s25, v2
	v_mad_co_u64_u32 v[40:41], null, s24, v2, v[40:41]
	s_delay_alu instid0(VALU_DEP_4) | instskip(NEXT) | instid1(VALU_DEP_2)
	v_add3_u32 v5, v7, v5, v6
	v_add3_u32 v41, v8, v41, v3
	s_wait_alu 0xfffe
	s_cbranch_vccnz .LBB0_9
; %bb.7:                                ;   in Loop: Header=BB0_2 Depth=1
	v_dual_mov_b32 v6, v42 :: v_dual_mov_b32 v7, v43
	s_branch .LBB0_2
.LBB0_8:
	v_dual_mov_b32 v41, v5 :: v_dual_mov_b32 v40, v4
	v_dual_mov_b32 v43, v7 :: v_dual_mov_b32 v42, v6
.LBB0_9:
	s_load_b64 s[0:1], s[0:1], 0x28
	v_mul_hi_u32 v1, 0x10b7e6f, v0
	s_lshl_b64 s[10:11], s[10:11], 3
                                        ; implicit-def: $vgpr45
	s_wait_alu 0xfffe
	s_add_nc_u64 s[2:3], s[14:15], s[10:11]
                                        ; implicit-def: $sgpr14
	s_wait_kmcnt 0x0
	v_cmp_gt_u64_e32 vcc_lo, s[0:1], v[42:43]
	v_cmp_le_u64_e64 s0, s[0:1], v[42:43]
	s_delay_alu instid0(VALU_DEP_1)
	s_and_saveexec_b32 s1, s0
	s_wait_alu 0xfffe
	s_xor_b32 s0, exec_lo, s1
; %bb.10:
	v_mul_u32_u24_e32 v1, 0xf5, v1
	s_mov_b32 s14, 0
                                        ; implicit-def: $vgpr4_vgpr5
	s_delay_alu instid0(VALU_DEP_1)
	v_sub_nc_u32_e32 v45, v0, v1
                                        ; implicit-def: $vgpr1
                                        ; implicit-def: $vgpr0
; %bb.11:
	s_wait_alu 0xfffe
	s_or_saveexec_b32 s1, s0
	s_load_b64 s[2:3], s[2:3], 0x0
	v_mov_b32_e32 v44, s14
                                        ; implicit-def: $vgpr18_vgpr19
                                        ; implicit-def: $vgpr10_vgpr11
                                        ; implicit-def: $vgpr14_vgpr15
                                        ; implicit-def: $vgpr6_vgpr7
                                        ; implicit-def: $vgpr2_vgpr3
                                        ; implicit-def: $vgpr22_vgpr23
                                        ; implicit-def: $vgpr26_vgpr27
                                        ; implicit-def: $vgpr38_vgpr39
                                        ; implicit-def: $vgpr30_vgpr31
                                        ; implicit-def: $vgpr34_vgpr35
	s_xor_b32 exec_lo, exec_lo, s1
	s_cbranch_execz .LBB0_15
; %bb.12:
	s_add_nc_u64 s[10:11], s[12:13], s[10:11]
                                        ; implicit-def: $vgpr12_vgpr13
                                        ; implicit-def: $vgpr8_vgpr9
                                        ; implicit-def: $vgpr16_vgpr17
	s_load_b64 s[10:11], s[10:11], 0x0
	s_wait_kmcnt 0x0
	v_mul_lo_u32 v6, s11, v42
	v_mul_lo_u32 v7, s10, v43
	v_mad_co_u64_u32 v[2:3], null, s10, v42, 0
	s_delay_alu instid0(VALU_DEP_1) | instskip(SKIP_1) | instid1(VALU_DEP_2)
	v_add3_u32 v3, v3, v7, v6
	v_mul_u32_u24_e32 v6, 0xf5, v1
	v_lshlrev_b64_e32 v[1:2], 4, v[2:3]
	v_lshlrev_b64_e32 v[3:4], 4, v[4:5]
	s_delay_alu instid0(VALU_DEP_3) | instskip(NEXT) | instid1(VALU_DEP_3)
	v_sub_nc_u32_e32 v45, v0, v6
	v_add_co_u32 v0, s0, s4, v1
	s_wait_alu 0xf1ff
	s_delay_alu instid0(VALU_DEP_4) | instskip(NEXT) | instid1(VALU_DEP_3)
	v_add_co_ci_u32_e64 v1, s0, s5, v2, s0
	v_lshlrev_b32_e32 v2, 4, v45
	s_delay_alu instid0(VALU_DEP_3) | instskip(SKIP_1) | instid1(VALU_DEP_3)
	v_add_co_u32 v0, s0, v0, v3
	s_wait_alu 0xf1ff
	v_add_co_ci_u32_e64 v1, s0, v1, v4, s0
	s_mov_b32 s4, exec_lo
	s_delay_alu instid0(VALU_DEP_2) | instskip(SKIP_1) | instid1(VALU_DEP_2)
	v_add_co_u32 v18, s0, v0, v2
	s_wait_alu 0xf1ff
	v_add_co_ci_u32_e64 v19, s0, 0, v1, s0
                                        ; implicit-def: $vgpr0_vgpr1
                                        ; implicit-def: $vgpr4_vgpr5
	s_clause 0x4
	global_load_b128 v[32:35], v[18:19], off
	global_load_b128 v[28:31], v[18:19], off offset:5488
	global_load_b128 v[36:39], v[18:19], off offset:10976
	;; [unrolled: 1-line block ×4, first 2 shown]
	v_cmpx_gt_u32_e32 0x62, v45
; %bb.13:
	s_clause 0x4
	global_load_b128 v[0:3], v[18:19], off offset:3920
	global_load_b128 v[4:7], v[18:19], off offset:9408
	;; [unrolled: 1-line block ×5, first 2 shown]
; %bb.14:
	s_wait_alu 0xfffe
	s_or_b32 exec_lo, exec_lo, s4
	v_mov_b32_e32 v44, v45
.LBB0_15:
	s_or_b32 exec_lo, exec_lo, s1
	s_wait_loadcnt 0x1
	v_add_f64_e32 v[46:47], v[24:25], v[36:37]
	s_wait_loadcnt 0x0
	v_add_f64_e32 v[48:49], v[20:21], v[28:29]
	v_add_f64_e32 v[50:51], v[28:29], v[32:33]
	v_add_f64_e64 v[52:53], v[30:31], -v[22:23]
	v_add_f64_e64 v[54:55], v[38:39], -v[26:27]
	s_mov_b32 s4, 0x134454ff
	s_mov_b32 s5, 0xbfee6f0e
	;; [unrolled: 1-line block ×3, first 2 shown]
	s_wait_alu 0xfffe
	s_mov_b32 s10, s4
	v_add_f64_e64 v[56:57], v[20:21], -v[24:25]
	v_add_f64_e64 v[58:59], v[36:37], -v[28:29]
	;; [unrolled: 1-line block ×3, first 2 shown]
	s_mov_b32 s12, 0x4755a5e
	s_mov_b32 s13, 0xbfe2cf23
	;; [unrolled: 1-line block ×6, first 2 shown]
	v_cmp_gt_u32_e64 s0, 0x62, v45
	v_fma_f64 v[46:47], v[46:47], -0.5, v[32:33]
	v_fma_f64 v[32:33], v[48:49], -0.5, v[32:33]
	v_add_f64_e64 v[48:49], v[28:29], -v[36:37]
	v_add_f64_e32 v[50:51], v[36:37], v[50:51]
	s_delay_alu instid0(VALU_DEP_4) | instskip(SKIP_1) | instid1(VALU_DEP_4)
	v_fma_f64 v[62:63], v[52:53], s[4:5], v[46:47]
	s_wait_alu 0xfffe
	v_fma_f64 v[64:65], v[54:55], s[10:11], v[32:33]
	v_fma_f64 v[32:33], v[54:55], s[4:5], v[32:33]
	;; [unrolled: 1-line block ×3, first 2 shown]
	v_add_f64_e32 v[48:49], v[56:57], v[48:49]
	v_add_f64_e32 v[56:57], v[60:61], v[58:59]
	;; [unrolled: 1-line block ×3, first 2 shown]
	v_fma_f64 v[58:59], v[54:55], s[12:13], v[62:63]
	v_fma_f64 v[60:61], v[52:53], s[12:13], v[64:65]
	;; [unrolled: 1-line block ×4, first 2 shown]
	v_add_f64_e32 v[50:51], v[20:21], v[50:51]
	v_fma_f64 v[52:53], v[48:49], s[16:17], v[58:59]
	v_fma_f64 v[54:55], v[56:57], s[16:17], v[60:61]
	;; [unrolled: 1-line block ×4, first 2 shown]
	v_mad_u32_u24 v32, v45, 40, 0
	ds_store_2addr_b64 v32, v[50:51], v[52:53] offset1:1
	ds_store_2addr_b64 v32, v[54:55], v[56:57] offset0:2 offset1:3
	ds_store_b64 v32, v[47:48] offset:32
	v_add_nc_u32_e32 v33, 0x2648, v32
	v_add_nc_u32_e32 v46, 0x2658, v32
	s_and_saveexec_b32 s1, s0
	s_cbranch_execz .LBB0_17
; %bb.16:
	v_add_f64_e32 v[47:48], v[16:17], v[4:5]
	v_add_f64_e32 v[49:50], v[8:9], v[12:13]
	v_add_f64_e64 v[51:52], v[14:15], -v[10:11]
	v_add_f64_e32 v[53:54], v[4:5], v[0:1]
	v_add_f64_e64 v[55:56], v[6:7], -v[18:19]
	v_add_f64_e64 v[57:58], v[8:9], -v[16:17]
	;; [unrolled: 1-line block ×4, first 2 shown]
	v_fma_f64 v[47:48], v[47:48], -0.5, v[0:1]
	v_fma_f64 v[0:1], v[49:50], -0.5, v[0:1]
	v_add_f64_e64 v[49:50], v[12:13], -v[4:5]
	v_add_f64_e32 v[53:54], v[12:13], v[53:54]
	s_delay_alu instid0(VALU_DEP_4)
	v_fma_f64 v[63:64], v[51:52], s[4:5], v[47:48]
	v_fma_f64 v[47:48], v[51:52], s[10:11], v[47:48]
	;; [unrolled: 1-line block ×4, first 2 shown]
	v_add_f64_e32 v[49:50], v[57:58], v[49:50]
	v_add_f64_e32 v[57:58], v[61:62], v[59:60]
	;; [unrolled: 1-line block ×3, first 2 shown]
	v_fma_f64 v[59:60], v[55:56], s[14:15], v[63:64]
	v_fma_f64 v[47:48], v[55:56], s[12:13], v[47:48]
	;; [unrolled: 1-line block ×4, first 2 shown]
	v_add_f64_e32 v[51:52], v[16:17], v[53:54]
	v_fma_f64 v[53:54], v[49:50], s[16:17], v[59:60]
	v_fma_f64 v[47:48], v[49:50], s[16:17], v[47:48]
	v_fma_f64 v[49:50], v[57:58], s[16:17], v[55:56]
	v_fma_f64 v[0:1], v[57:58], s[16:17], v[0:1]
	ds_store_2addr_b64 v46, v[47:48], v[53:54] offset1:1
	ds_store_2addr_b64 v33, v[51:52], v[49:50] offset1:1
	ds_store_b64 v32, v[0:1] offset:9832
.LBB0_17:
	s_wait_alu 0xfffe
	s_or_b32 exec_lo, exec_lo, s1
	v_add_f64_e32 v[0:1], v[26:27], v[38:39]
	v_add_f64_e32 v[47:48], v[22:23], v[30:31]
	;; [unrolled: 1-line block ×3, first 2 shown]
	v_add_f64_e64 v[20:21], v[28:29], -v[20:21]
	v_add_f64_e64 v[24:25], v[36:37], -v[24:25]
	;; [unrolled: 1-line block ×3, first 2 shown]
	global_wb scope:SCOPE_SE
	s_wait_dscnt 0x0
	s_wait_kmcnt 0x0
	s_barrier_signal -1
	s_barrier_wait -1
	global_inv scope:SCOPE_SE
	v_fma_f64 v[0:1], v[0:1], -0.5, v[34:35]
	v_fma_f64 v[28:29], v[47:48], -0.5, v[34:35]
	v_add_f64_e64 v[34:35], v[30:31], -v[38:39]
	v_add_f64_e64 v[30:31], v[38:39], -v[30:31]
	v_add_f64_e32 v[38:39], v[38:39], v[49:50]
	v_add_f64_e64 v[47:48], v[26:27], -v[22:23]
	v_fma_f64 v[49:50], v[20:21], s[10:11], v[0:1]
	v_fma_f64 v[51:52], v[24:25], s[4:5], v[28:29]
	v_fma_f64 v[28:29], v[24:25], s[10:11], v[28:29]
	v_fma_f64 v[0:1], v[20:21], s[4:5], v[0:1]
	v_add_f64_e32 v[34:35], v[36:37], v[34:35]
	v_add_f64_e32 v[26:27], v[26:27], v[38:39]
	;; [unrolled: 1-line block ×3, first 2 shown]
	v_fma_f64 v[36:37], v[24:25], s[14:15], v[49:50]
	v_fma_f64 v[38:39], v[20:21], s[14:15], v[51:52]
	v_fma_f64 v[20:21], v[20:21], s[12:13], v[28:29]
	v_fma_f64 v[0:1], v[24:25], s[12:13], v[0:1]
	v_add_f64_e32 v[47:48], v[22:23], v[26:27]
	v_fma_f64 v[36:37], v[34:35], s[16:17], v[36:37]
	v_fma_f64 v[38:39], v[30:31], s[16:17], v[38:39]
	;; [unrolled: 1-line block ×4, first 2 shown]
	v_lshlrev_b32_e32 v34, 5, v45
	s_delay_alu instid0(VALU_DEP_1) | instskip(SKIP_1) | instid1(VALU_DEP_2)
	v_sub_nc_u32_e32 v0, v32, v34
	v_sub_nc_u32_e32 v34, 0, v34
	v_add_nc_u32_e32 v24, 0xf00, v0
	v_add_nc_u32_e32 v25, 0x1e80, v0
	ds_load_2addr_b64 v[20:23], v0 offset1:245
	ds_load_b64 v[0:1], v0 offset:11760
	ds_load_2addr_b64 v[28:31], v24 offset0:10 offset1:255
	ds_load_2addr_b64 v[24:27], v25 offset0:4 offset1:249
	global_wb scope:SCOPE_SE
	s_wait_dscnt 0x0
	s_barrier_signal -1
	s_barrier_wait -1
	global_inv scope:SCOPE_SE
	ds_store_2addr_b64 v32, v[47:48], v[36:37] offset1:1
	ds_store_2addr_b64 v32, v[38:39], v[49:50] offset0:2 offset1:3
	ds_store_b64 v32, v[51:52] offset:32
	s_and_saveexec_b32 s1, s0
	s_cbranch_execz .LBB0_19
; %bb.18:
	v_add_f64_e32 v[35:36], v[18:19], v[6:7]
	v_add_f64_e32 v[37:38], v[10:11], v[14:15]
	;; [unrolled: 1-line block ×3, first 2 shown]
	v_add_f64_e64 v[8:9], v[12:13], -v[8:9]
	v_add_f64_e64 v[4:5], v[4:5], -v[16:17]
	s_mov_b32 s4, 0x134454ff
	s_mov_b32 s5, 0x3fee6f0e
	;; [unrolled: 1-line block ×3, first 2 shown]
	s_wait_alu 0xfffe
	s_mov_b32 s10, s4
	v_add_f64_e64 v[16:17], v[6:7], -v[14:15]
	v_add_f64_e64 v[6:7], v[14:15], -v[6:7]
	v_fma_f64 v[12:13], v[35:36], -0.5, v[2:3]
	v_fma_f64 v[2:3], v[37:38], -0.5, v[2:3]
	v_add_f64_e64 v[37:38], v[10:11], -v[18:19]
	v_add_f64_e32 v[14:15], v[14:15], v[47:48]
	v_add_f64_e64 v[35:36], v[18:19], -v[10:11]
	s_wait_alu 0xfffe
	v_fma_f64 v[47:48], v[8:9], s[10:11], v[12:13]
	v_fma_f64 v[12:13], v[8:9], s[4:5], v[12:13]
	v_fma_f64 v[49:50], v[4:5], s[4:5], v[2:3]
	v_fma_f64 v[2:3], v[4:5], s[10:11], v[2:3]
	s_mov_b32 s4, 0x4755a5e
	s_mov_b32 s5, 0x3fe2cf23
	;; [unrolled: 1-line block ×3, first 2 shown]
	s_wait_alu 0xfffe
	s_mov_b32 s10, s4
	v_add_f64_e32 v[6:7], v[37:38], v[6:7]
	v_add_f64_e32 v[10:11], v[10:11], v[14:15]
	;; [unrolled: 1-line block ×3, first 2 shown]
	v_fma_f64 v[14:15], v[4:5], s[4:5], v[47:48]
	s_wait_alu 0xfffe
	v_fma_f64 v[4:5], v[4:5], s[10:11], v[12:13]
	v_fma_f64 v[12:13], v[8:9], s[4:5], v[49:50]
	;; [unrolled: 1-line block ×3, first 2 shown]
	s_mov_b32 s4, 0x372fe950
	s_mov_b32 s5, 0x3fd3c6ef
	v_add_f64_e32 v[8:9], v[18:19], v[10:11]
	s_wait_alu 0xfffe
	v_fma_f64 v[10:11], v[6:7], s[4:5], v[14:15]
	v_fma_f64 v[4:5], v[6:7], s[4:5], v[4:5]
	;; [unrolled: 1-line block ×4, first 2 shown]
	ds_store_2addr_b64 v46, v[10:11], v[4:5] offset1:1
	ds_store_2addr_b64 v33, v[8:9], v[6:7] offset1:1
	ds_store_b64 v32, v[2:3] offset:9832
.LBB0_19:
	s_wait_alu 0xfffe
	s_or_b32 exec_lo, exec_lo, s1
	v_and_b32_e32 v7, 0xff, v45
	global_wb scope:SCOPE_SE
	s_wait_dscnt 0x0
	s_barrier_signal -1
	s_barrier_wait -1
	global_inv scope:SCOPE_SE
	v_mul_lo_u16 v2, 0xcd, v7
	v_add_nc_u32_e32 v14, v32, v34
	s_mov_b32 s4, 0x37e14327
	s_mov_b32 s10, 0xe976ee23
	s_mov_b32 s0, 0x429ad128
	v_lshrrev_b16 v13, 10, v2
	v_add_nc_u32_e32 v4, 0xf00, v14
	v_add_nc_u32_e32 v8, 0x1e80, v14
	s_mov_b32 s14, 0x36b3c0b5
	s_mov_b32 s5, 0x3fe948f6
	v_mul_lo_u16 v2, v13, 5
	s_mov_b32 s11, 0x3fe11646
	s_mov_b32 s1, 0xbfebfeb5
	;; [unrolled: 1-line block ×4, first 2 shown]
	v_sub_nc_u16 v2, v45, v2
	s_mov_b32 s16, 0x5476071b
	s_mov_b32 s20, 0xb247c609
	;; [unrolled: 1-line block ×4, first 2 shown]
	v_and_b32_e32 v78, 0xff, v2
	s_mov_b32 s19, 0xbfe77f67
	s_mov_b32 s21, 0xbfd5d0dc
	;; [unrolled: 1-line block ×3, first 2 shown]
	s_wait_alu 0xfffe
	s_mov_b32 s18, s16
	v_mul_u32_u24_e32 v2, 6, v78
	s_mov_b32 s22, s20
	s_mov_b32 s24, 0x37c3f68c
	;; [unrolled: 1-line block ×3, first 2 shown]
	v_mul_lo_u16 v7, 0xeb, v7
	v_lshlrev_b32_e32 v2, 4, v2
	s_clause 0x5
	global_load_b128 v[9:12], v2, s[8:9]
	global_load_b128 v[15:18], v2, s[8:9] offset:16
	global_load_b128 v[35:38], v2, s[8:9] offset:80
	;; [unrolled: 1-line block ×5, first 2 shown]
	ds_load_2addr_b64 v[58:61], v14 offset1:245
	ds_load_2addr_b64 v[62:65], v4 offset0:10 offset1:255
	ds_load_b64 v[2:3], v14 offset:11760
	ds_load_2addr_b64 v[66:69], v8 offset0:4 offset1:249
	v_lshrrev_b16 v7, 13, v7
	global_wb scope:SCOPE_SE
	s_wait_loadcnt_dscnt 0x0
	s_barrier_signal -1
	s_barrier_wait -1
	global_inv scope:SCOPE_SE
	v_mul_f64_e32 v[5:6], v[60:61], v[11:12]
	v_mul_f64_e32 v[32:33], v[62:63], v[17:18]
	;; [unrolled: 1-line block ×12, first 2 shown]
	v_fma_f64 v[5:6], v[22:23], v[9:10], v[5:6]
	v_fma_f64 v[22:23], v[28:29], v[15:16], v[32:33]
	;; [unrolled: 1-line block ×4, first 2 shown]
	v_fma_f64 v[9:10], v[60:61], v[9:10], -v[11:12]
	v_fma_f64 v[11:12], v[62:63], v[15:16], -v[17:18]
	;; [unrolled: 1-line block ×4, first 2 shown]
	v_fma_f64 v[17:18], v[30:31], v[50:51], v[74:75]
	v_fma_f64 v[28:29], v[64:65], v[50:51], -v[52:53]
	v_fma_f64 v[24:25], v[24:25], v[54:55], v[76:77]
	v_fma_f64 v[30:31], v[66:67], v[54:55], -v[56:57]
	v_add_f64_e32 v[32:33], v[5:6], v[0:1]
	v_add_f64_e32 v[34:35], v[22:23], v[26:27]
	v_add_f64_e64 v[22:23], v[22:23], -v[26:27]
	v_add_f64_e64 v[0:1], v[5:6], -v[0:1]
	v_add_f64_e32 v[36:37], v[9:10], v[2:3]
	v_add_f64_e32 v[38:39], v[11:12], v[15:16]
	v_add_f64_e64 v[11:12], v[11:12], -v[15:16]
	v_add_f64_e64 v[2:3], v[9:10], -v[2:3]
	v_add_f64_e32 v[15:16], v[17:18], v[24:25]
	v_add_f64_e64 v[46:47], v[30:31], -v[28:29]
	v_add_f64_e32 v[26:27], v[28:29], v[30:31]
	v_add_f64_e64 v[17:18], v[24:25], -v[17:18]
	v_add_f64_e32 v[9:10], v[34:35], v[32:33]
	v_add_f64_e64 v[52:53], v[22:23], -v[0:1]
	v_add_f64_e32 v[5:6], v[38:39], v[36:37]
	v_add_f64_e64 v[30:31], v[11:12], -v[2:3]
	v_add_f64_e64 v[24:25], v[32:33], -v[15:16]
	;; [unrolled: 1-line block ×5, first 2 shown]
	v_add_f64_e32 v[11:12], v[46:47], v[11:12]
	v_add_f64_e64 v[46:47], v[2:3], -v[46:47]
	v_add_f64_e64 v[32:33], v[34:35], -v[32:33]
	;; [unrolled: 1-line block ×3, first 2 shown]
	v_add_f64_e32 v[9:10], v[15:16], v[9:10]
	v_add_f64_e64 v[15:16], v[15:16], -v[34:35]
	v_mul_f64_e32 v[56:57], s[0:1], v[52:53]
	v_add_f64_e32 v[5:6], v[26:27], v[5:6]
	v_add_f64_e64 v[26:27], v[26:27], -v[38:39]
	v_mul_f64_e32 v[54:55], s[0:1], v[30:31]
	v_mul_f64_e32 v[24:25], s[4:5], v[24:25]
	;; [unrolled: 1-line block ×5, first 2 shown]
	v_add_f64_e32 v[2:3], v[11:12], v[2:3]
	v_add_f64_e32 v[19:20], v[20:21], v[9:10]
	v_mul_f64_e32 v[34:35], s[14:15], v[15:16]
	v_add_f64_e32 v[21:22], v[17:18], v[22:23]
	v_add_f64_e64 v[17:18], v[0:1], -v[17:18]
	v_add_f64_e32 v[58:59], v[58:59], v[5:6]
	v_mul_f64_e32 v[38:39], s[14:15], v[26:27]
	v_fma_f64 v[11:12], v[15:16], s[14:15], v[24:25]
	v_fma_f64 v[15:16], v[46:47], s[20:21], v[28:29]
	v_fma_f64 v[28:29], v[30:31], s[0:1], -v[28:29]
	v_fma_f64 v[30:31], v[46:47], s[22:23], -v[54:55]
	;; [unrolled: 1-line block ×4, first 2 shown]
	v_fma_f64 v[9:10], v[9:10], s[12:13], v[19:20]
	v_fma_f64 v[32:33], v[32:33], s[16:17], -v[34:35]
	v_add_f64_e32 v[0:1], v[21:22], v[0:1]
	v_fma_f64 v[21:22], v[26:27], s[14:15], v[48:49]
	v_fma_f64 v[25:26], v[17:18], s[20:21], v[50:51]
	v_fma_f64 v[34:35], v[52:53], s[0:1], -v[50:51]
	v_fma_f64 v[17:18], v[17:18], s[22:23], -v[56:57]
	v_fma_f64 v[5:6], v[5:6], s[12:13], v[58:59]
	v_fma_f64 v[36:37], v[36:37], s[16:17], -v[38:39]
	s_wait_alu 0xfffe
	v_fma_f64 v[15:16], v[2:3], s[24:25], v[15:16]
	v_fma_f64 v[27:28], v[2:3], s[24:25], v[28:29]
	;; [unrolled: 1-line block ×3, first 2 shown]
	v_add_f64_e32 v[11:12], v[11:12], v[9:10]
	v_add_f64_e32 v[23:24], v[23:24], v[9:10]
	v_add_f64_e32 v[9:10], v[32:33], v[9:10]
	v_fma_f64 v[25:26], v[0:1], s[24:25], v[25:26]
	v_fma_f64 v[29:30], v[0:1], s[24:25], v[34:35]
	;; [unrolled: 1-line block ×3, first 2 shown]
	v_add_f64_e32 v[17:18], v[21:22], v[5:6]
	v_add_f64_e32 v[21:22], v[46:47], v[5:6]
	v_add_f64_e32 v[5:6], v[36:37], v[5:6]
	v_add_f64_e32 v[31:32], v[15:16], v[11:12]
	v_add_f64_e32 v[33:34], v[2:3], v[23:24]
	v_add_f64_e64 v[2:3], v[23:24], -v[2:3]
	v_add_f64_e64 v[35:36], v[9:10], -v[27:28]
	v_add_f64_e32 v[9:10], v[27:28], v[9:10]
	v_add_f64_e64 v[11:12], v[11:12], -v[15:16]
	v_mul_lo_u16 v15, v7, 35
	v_add_f64_e64 v[23:24], v[17:18], -v[25:26]
	v_add_f64_e64 v[27:28], v[21:22], -v[0:1]
	v_add_f64_e32 v[37:38], v[29:30], v[5:6]
	v_add_f64_e64 v[5:6], v[5:6], -v[29:30]
	v_add_f64_e32 v[21:22], v[0:1], v[21:22]
	v_add_f64_e32 v[25:26], v[25:26], v[17:18]
	v_sub_nc_u16 v15, v45, v15
	v_and_b32_e32 v0, 0xffff, v13
	v_lshlrev_b32_e32 v1, 3, v78
	v_and_b32_e32 v7, 0xffff, v7
	s_delay_alu instid0(VALU_DEP_4) | instskip(NEXT) | instid1(VALU_DEP_4)
	v_and_b32_e32 v13, 0xff, v15
	v_mul_u32_u24_e32 v0, 0x118, v0
	s_delay_alu instid0(VALU_DEP_2) | instskip(NEXT) | instid1(VALU_DEP_2)
	v_mul_u32_u24_e32 v15, 6, v13
	v_add3_u32 v29, 0, v0, v1
	ds_store_2addr_b64 v29, v[19:20], v[31:32] offset1:5
	ds_store_2addr_b64 v29, v[33:34], v[35:36] offset0:10 offset1:15
	ds_store_2addr_b64 v29, v[9:10], v[2:3] offset0:20 offset1:25
	ds_store_b64 v29, v[11:12] offset:240
	v_lshlrev_b32_e32 v39, 4, v15
	global_wb scope:SCOPE_SE
	s_wait_dscnt 0x0
	s_barrier_signal -1
	s_barrier_wait -1
	global_inv scope:SCOPE_SE
	ds_load_2addr_b64 v[0:3], v14 offset1:245
	ds_load_2addr_b64 v[9:12], v4 offset0:10 offset1:255
	ds_load_2addr_b64 v[15:18], v8 offset0:4 offset1:249
	ds_load_b64 v[62:63], v14 offset:11760
	global_wb scope:SCOPE_SE
	s_wait_dscnt 0x0
	s_barrier_signal -1
	s_barrier_wait -1
	global_inv scope:SCOPE_SE
	ds_store_2addr_b64 v29, v[58:59], v[23:24] offset1:5
	ds_store_2addr_b64 v29, v[27:28], v[37:38] offset0:10 offset1:15
	ds_store_2addr_b64 v29, v[5:6], v[21:22] offset0:20 offset1:25
	ds_store_b64 v29, v[25:26] offset:240
	global_wb scope:SCOPE_SE
	s_wait_dscnt 0x0
	s_barrier_signal -1
	s_barrier_wait -1
	global_inv scope:SCOPE_SE
	s_clause 0x5
	global_load_b128 v[19:22], v39, s[8:9] offset:480
	global_load_b128 v[23:26], v39, s[8:9] offset:496
	;; [unrolled: 1-line block ×6, first 2 shown]
	ds_load_2addr_b64 v[50:53], v14 offset1:245
	ds_load_2addr_b64 v[54:57], v4 offset0:10 offset1:255
	ds_load_b64 v[5:6], v14 offset:11760
	ds_load_2addr_b64 v[58:61], v8 offset0:4 offset1:249
	global_wb scope:SCOPE_SE
	s_wait_loadcnt_dscnt 0x0
	s_barrier_signal -1
	s_barrier_wait -1
	global_inv scope:SCOPE_SE
	v_mul_f64_e32 v[64:65], v[52:53], v[21:22]
	v_mul_f64_e32 v[66:67], v[54:55], v[25:26]
	;; [unrolled: 1-line block ×12, first 2 shown]
	v_fma_f64 v[2:3], v[2:3], v[19:20], v[64:65]
	v_fma_f64 v[9:10], v[9:10], v[23:24], v[66:67]
	;; [unrolled: 1-line block ×4, first 2 shown]
	v_fma_f64 v[19:20], v[52:53], v[19:20], -v[21:22]
	v_fma_f64 v[21:22], v[54:55], v[23:24], -v[25:26]
	;; [unrolled: 1-line block ×4, first 2 shown]
	v_fma_f64 v[11:12], v[11:12], v[35:36], v[72:73]
	v_fma_f64 v[25:26], v[56:57], v[35:36], -v[37:38]
	v_fma_f64 v[15:16], v[15:16], v[46:47], v[74:75]
	v_fma_f64 v[27:28], v[58:59], v[46:47], -v[48:49]
	v_add_f64_e32 v[29:30], v[2:3], v[62:63]
	v_add_f64_e32 v[31:32], v[9:10], v[17:18]
	v_add_f64_e64 v[9:10], v[9:10], -v[17:18]
	v_add_f64_e64 v[2:3], v[2:3], -v[62:63]
	v_add_f64_e32 v[33:34], v[19:20], v[5:6]
	v_add_f64_e32 v[35:36], v[21:22], v[23:24]
	v_add_f64_e64 v[21:22], v[21:22], -v[23:24]
	v_add_f64_e64 v[5:6], v[19:20], -v[5:6]
	v_add_f64_e32 v[23:24], v[11:12], v[15:16]
	v_add_f64_e64 v[37:38], v[27:28], -v[25:26]
	v_add_f64_e32 v[17:18], v[25:26], v[27:28]
	;; [unrolled: 2-line block ×4, first 2 shown]
	v_add_f64_e64 v[46:47], v[21:22], -v[5:6]
	v_add_f64_e64 v[25:26], v[29:30], -v[23:24]
	;; [unrolled: 1-line block ×5, first 2 shown]
	v_add_f64_e32 v[21:22], v[37:38], v[21:22]
	v_add_f64_e64 v[37:38], v[5:6], -v[37:38]
	v_add_f64_e64 v[29:30], v[31:32], -v[29:30]
	v_add_f64_e32 v[9:10], v[11:12], v[9:10]
	v_add_f64_e64 v[11:12], v[2:3], -v[11:12]
	v_add_f64_e64 v[33:34], v[35:36], -v[33:34]
	v_add_f64_e32 v[19:20], v[23:24], v[19:20]
	v_add_f64_e64 v[23:24], v[23:24], -v[31:32]
	v_mul_f64_e32 v[58:59], s[0:1], v[54:55]
	v_add_f64_e32 v[15:16], v[17:18], v[15:16]
	v_add_f64_e64 v[17:18], v[17:18], -v[35:36]
	v_mul_f64_e32 v[56:57], s[0:1], v[46:47]
	v_mul_f64_e32 v[25:26], s[4:5], v[25:26]
	;; [unrolled: 1-line block ×5, first 2 shown]
	v_add_f64_e32 v[5:6], v[21:22], v[5:6]
	v_add_f64_e32 v[2:3], v[9:10], v[2:3]
	;; [unrolled: 1-line block ×3, first 2 shown]
	v_mul_f64_e32 v[31:32], s[14:15], v[23:24]
	v_add_f64_e32 v[50:51], v[50:51], v[15:16]
	v_mul_f64_e32 v[35:36], s[14:15], v[17:18]
	v_fma_f64 v[21:22], v[23:24], s[14:15], v[25:26]
	v_fma_f64 v[23:24], v[37:38], s[20:21], v[27:28]
	v_fma_f64 v[27:28], v[46:47], s[0:1], -v[27:28]
	v_fma_f64 v[37:38], v[37:38], s[22:23], -v[56:57]
	;; [unrolled: 1-line block ×3, first 2 shown]
	v_fma_f64 v[9:10], v[17:18], s[14:15], v[48:49]
	v_fma_f64 v[17:18], v[11:12], s[20:21], v[52:53]
	v_fma_f64 v[11:12], v[11:12], s[22:23], -v[58:59]
	v_fma_f64 v[46:47], v[33:34], s[18:19], -v[48:49]
	v_fma_f64 v[19:20], v[19:20], s[12:13], v[0:1]
	v_fma_f64 v[29:30], v[29:30], s[16:17], -v[31:32]
	v_fma_f64 v[31:32], v[54:55], s[0:1], -v[52:53]
	v_fma_f64 v[15:16], v[15:16], s[12:13], v[50:51]
	v_fma_f64 v[33:34], v[33:34], s[16:17], -v[35:36]
	v_fma_f64 v[23:24], v[5:6], s[24:25], v[23:24]
	v_fma_f64 v[27:28], v[5:6], s[24:25], v[27:28]
	;; [unrolled: 1-line block ×4, first 2 shown]
	v_add_f64_e32 v[21:22], v[21:22], v[19:20]
	v_add_f64_e32 v[25:26], v[25:26], v[19:20]
	v_add_f64_e32 v[19:20], v[29:30], v[19:20]
	v_fma_f64 v[29:30], v[2:3], s[24:25], v[31:32]
	v_add_f64_e32 v[9:10], v[9:10], v[15:16]
	v_fma_f64 v[2:3], v[2:3], s[24:25], v[11:12]
	v_add_f64_e32 v[11:12], v[46:47], v[15:16]
	v_add_f64_e32 v[15:16], v[33:34], v[15:16]
	;; [unrolled: 1-line block ×4, first 2 shown]
	v_add_f64_e64 v[35:36], v[19:20], -v[27:28]
	v_add_f64_e32 v[19:20], v[27:28], v[19:20]
	v_add_f64_e64 v[5:6], v[25:26], -v[5:6]
	v_add_f64_e64 v[21:22], v[21:22], -v[23:24]
	;; [unrolled: 1-line block ×4, first 2 shown]
	v_add_f64_e32 v[27:28], v[29:30], v[15:16]
	v_add_f64_e64 v[15:16], v[15:16], -v[29:30]
	v_add_f64_e32 v[29:30], v[2:3], v[11:12]
	v_add_f64_e32 v[17:18], v[17:18], v[9:10]
	v_mul_u32_u24_e32 v2, 0x7a8, v7
	v_lshlrev_b32_e32 v3, 3, v13
	s_delay_alu instid0(VALU_DEP_1)
	v_add3_u32 v37, 0, v2, v3
	ds_store_2addr_b64 v37, v[0:1], v[31:32] offset1:35
	ds_store_2addr_b64 v37, v[33:34], v[35:36] offset0:70 offset1:105
	ds_store_2addr_b64 v37, v[19:20], v[5:6] offset0:140 offset1:175
	ds_store_b64 v37, v[21:22] offset:1680
	global_wb scope:SCOPE_SE
	s_wait_dscnt 0x0
	s_barrier_signal -1
	s_barrier_wait -1
	global_inv scope:SCOPE_SE
	ds_load_2addr_b64 v[0:3], v14 offset1:245
	ds_load_2addr_b64 v[4:7], v4 offset0:10 offset1:255
	ds_load_2addr_b64 v[8:11], v8 offset0:4 offset1:249
	ds_load_b64 v[12:13], v14 offset:11760
	global_wb scope:SCOPE_SE
	s_wait_dscnt 0x0
	s_barrier_signal -1
	s_barrier_wait -1
	global_inv scope:SCOPE_SE
	ds_store_2addr_b64 v37, v[50:51], v[23:24] offset1:35
	ds_store_2addr_b64 v37, v[25:26], v[27:28] offset0:70 offset1:105
	ds_store_2addr_b64 v37, v[15:16], v[29:30] offset0:140 offset1:175
	ds_store_b64 v37, v[17:18] offset:1680
	global_wb scope:SCOPE_SE
	s_wait_dscnt 0x0
	s_barrier_signal -1
	s_barrier_wait -1
	global_inv scope:SCOPE_SE
	s_and_saveexec_b32 s26, vcc_lo
	s_cbranch_execz .LBB0_21
; %bb.20:
	v_mul_u32_u24_e32 v15, 6, v45
	s_delay_alu instid0(VALU_DEP_1)
	v_lshlrev_b32_e32 v35, 4, v15
	s_clause 0x5
	global_load_b128 v[15:18], v35, s[8:9] offset:3856
	global_load_b128 v[19:22], v35, s[8:9] offset:3904
	;; [unrolled: 1-line block ×6, first 2 shown]
	s_wait_loadcnt 0x5
	v_mul_f64_e32 v[49:50], v[4:5], v[17:18]
	s_wait_loadcnt 0x4
	v_mul_f64_e32 v[51:52], v[10:11], v[21:22]
	;; [unrolled: 2-line block ×4, first 2 shown]
	v_mul_f64_e32 v[57:58], v[4:5], v[15:16]
	v_mul_f64_e32 v[59:60], v[10:11], v[19:20]
	;; [unrolled: 1-line block ×4, first 2 shown]
	v_add_nc_u32_e32 v2, 0xf00, v14
	v_add_nc_u32_e32 v10, 0x1e80, v14
	ds_load_2addr_b64 v[2:5], v2 offset0:10 offset1:255
	ds_load_2addr_b64 v[10:13], v10 offset0:4 offset1:249
	ds_load_2addr_b64 v[45:48], v14 offset1:245
	ds_load_b64 v[65:66], v14 offset:11760
	s_wait_loadcnt 0x1
	v_mul_f64_e32 v[67:68], v[8:9], v[31:32]
	s_wait_loadcnt 0x0
	v_mul_f64_e32 v[69:70], v[6:7], v[35:36]
	v_mul_f64_e32 v[6:7], v[6:7], v[37:38]
	;; [unrolled: 1-line block ×3, first 2 shown]
	s_wait_dscnt 0x3
	v_fma_f64 v[14:15], v[2:3], v[15:16], -v[49:50]
	s_wait_dscnt 0x2
	v_fma_f64 v[19:20], v[12:13], v[19:20], -v[51:52]
	;; [unrolled: 2-line block ×4, first 2 shown]
	v_fma_f64 v[2:3], v[2:3], v[17:18], v[57:58]
	v_fma_f64 v[12:13], v[12:13], v[21:22], v[59:60]
	v_fma_f64 v[16:17], v[47:48], v[25:26], v[61:62]
	v_fma_f64 v[21:22], v[65:66], v[29:30], v[63:64]
	v_fma_f64 v[25:26], v[10:11], v[33:34], v[67:68]
	v_fma_f64 v[29:30], v[4:5], v[37:38], v[69:70]
	v_fma_f64 v[4:5], v[4:5], v[35:36], -v[6:7]
	v_fma_f64 v[6:7], v[10:11], v[31:32], -v[8:9]
	v_add_f64_e32 v[8:9], v[14:15], v[19:20]
	v_add_f64_e32 v[10:11], v[23:24], v[27:28]
	;; [unrolled: 1-line block ×3, first 2 shown]
	v_add_f64_e64 v[2:3], v[2:3], -v[12:13]
	v_add_f64_e32 v[33:34], v[16:17], v[21:22]
	v_add_f64_e64 v[16:17], v[16:17], -v[21:22]
	v_add_f64_e64 v[35:36], v[25:26], -v[29:30]
	v_add_f64_e32 v[25:26], v[25:26], v[29:30]
	v_add_f64_e32 v[12:13], v[6:7], v[4:5]
	v_add_f64_e64 v[4:5], v[6:7], -v[4:5]
	v_add_f64_e64 v[6:7], v[14:15], -v[19:20]
	;; [unrolled: 1-line block ×3, first 2 shown]
	v_add_f64_e32 v[21:22], v[8:9], v[10:11]
	v_add_f64_e32 v[18:19], v[31:32], v[33:34]
	v_add_f64_e64 v[37:38], v[2:3], -v[16:17]
	v_add_f64_e64 v[23:24], v[35:36], -v[2:3]
	;; [unrolled: 1-line block ×4, first 2 shown]
	v_add_f64_e32 v[51:52], v[35:36], v[2:3]
	v_add_f64_e64 v[47:48], v[4:5], -v[6:7]
	v_add_f64_e64 v[49:50], v[6:7], -v[14:15]
	;; [unrolled: 1-line block ×3, first 2 shown]
	v_add_f64_e32 v[6:7], v[4:5], v[6:7]
	v_add_f64_e64 v[4:5], v[14:15], -v[4:5]
	v_add_f64_e32 v[20:21], v[12:13], v[21:22]
	v_add_f64_e64 v[12:13], v[12:13], -v[8:9]
	v_add_f64_e64 v[8:9], v[8:9], -v[10:11]
	v_add_f64_e32 v[18:19], v[25:26], v[18:19]
	v_add_f64_e64 v[25:26], v[25:26], -v[31:32]
	v_mul_f64_e32 v[53:54], s[0:1], v[37:38]
	v_add_f64_e64 v[31:32], v[31:32], -v[33:34]
	v_mul_f64_e32 v[22:23], s[10:11], v[23:24]
	v_mul_f64_e32 v[29:30], s[4:5], v[29:30]
	;; [unrolled: 1-line block ×3, first 2 shown]
	v_add_f64_e32 v[16:17], v[51:52], v[16:17]
	v_add_f64_e32 v[6:7], v[6:7], v[14:15]
	v_add_f64_e32 v[2:3], v[45:46], v[20:21]
	v_mul_f64_e32 v[10:11], s[14:15], v[12:13]
	v_mul_f64_e32 v[45:46], s[10:11], v[47:48]
	;; [unrolled: 1-line block ×3, first 2 shown]
	v_add_f64_e32 v[0:1], v[0:1], v[18:19]
	v_mul_f64_e32 v[33:34], s[14:15], v[25:26]
	v_fma_f64 v[14:15], v[35:36], s[20:21], v[22:23]
	v_fma_f64 v[24:25], v[25:26], s[14:15], v[29:30]
	;; [unrolled: 1-line block ×3, first 2 shown]
	v_fma_f64 v[35:36], v[35:36], s[22:23], -v[53:54]
	v_fma_f64 v[22:23], v[37:38], s[0:1], -v[22:23]
	;; [unrolled: 1-line block ×4, first 2 shown]
	v_fma_f64 v[20:21], v[20:21], s[12:13], v[2:3]
	v_fma_f64 v[8:9], v[8:9], s[16:17], -v[10:11]
	v_fma_f64 v[10:11], v[4:5], s[20:21], v[45:46]
	v_fma_f64 v[37:38], v[49:50], s[0:1], -v[45:46]
	v_fma_f64 v[18:19], v[18:19], s[12:13], v[0:1]
	v_fma_f64 v[4:5], v[4:5], s[22:23], -v[47:48]
	v_fma_f64 v[30:31], v[31:32], s[16:17], -v[33:34]
	v_mul_lo_u32 v47, s3, v42
	v_mul_lo_u32 v48, s2, v43
	v_mad_co_u64_u32 v[42:43], null, s2, v42, 0
	v_fma_f64 v[32:33], v[16:17], s[24:25], v[14:15]
	v_fma_f64 v[34:35], v[16:17], s[24:25], v[35:36]
	;; [unrolled: 1-line block ×3, first 2 shown]
	s_delay_alu instid0(VALU_DEP_4)
	v_add3_u32 v43, v43, v48, v47
	v_add_f64_e32 v[12:13], v[12:13], v[20:21]
	v_add_f64_e32 v[22:23], v[26:27], v[20:21]
	v_fma_f64 v[45:46], v[6:7], s[24:25], v[10:11]
	v_fma_f64 v[36:37], v[6:7], s[24:25], v[37:38]
	v_add_f64_e32 v[38:39], v[24:25], v[18:19]
	v_fma_f64 v[4:5], v[6:7], s[24:25], v[4:5]
	v_add_f64_e32 v[28:29], v[28:29], v[18:19]
	v_add_f64_e32 v[8:9], v[8:9], v[20:21]
	;; [unrolled: 1-line block ×3, first 2 shown]
	v_add_f64_e64 v[26:27], v[12:13], -v[32:33]
	v_add_f64_e32 v[10:11], v[34:35], v[22:23]
	v_add_f64_e64 v[22:23], v[22:23], -v[34:35]
	v_add_f64_e32 v[6:7], v[32:33], v[12:13]
	v_add_f64_e32 v[24:25], v[45:46], v[38:39]
	;; [unrolled: 1-line block ×3, first 2 shown]
	v_add_f64_e64 v[14:15], v[8:9], -v[16:17]
	v_add_f64_e32 v[18:19], v[16:17], v[8:9]
	v_add_f64_e64 v[16:17], v[30:31], -v[36:37]
	v_add_f64_e32 v[12:13], v[36:37], v[30:31]
	v_add_f64_e64 v[8:9], v[28:29], -v[4:5]
	v_add_f64_e64 v[4:5], v[38:39], -v[45:46]
	v_mov_b32_e32 v45, 0
	v_lshlrev_b64_e32 v[28:29], 4, v[42:43]
	v_lshlrev_b64_e32 v[30:31], 4, v[40:41]
	s_delay_alu instid0(VALU_DEP_2) | instskip(SKIP_1) | instid1(VALU_DEP_3)
	v_add_co_u32 v32, vcc_lo, s6, v28
	s_wait_alu 0xfffd
	v_add_co_ci_u32_e32 v33, vcc_lo, s7, v29, vcc_lo
	v_lshlrev_b64_e32 v[28:29], 4, v[44:45]
	s_delay_alu instid0(VALU_DEP_3) | instskip(SKIP_1) | instid1(VALU_DEP_3)
	v_add_co_u32 v30, vcc_lo, v32, v30
	s_wait_alu 0xfffd
	v_add_co_ci_u32_e32 v31, vcc_lo, v33, v31, vcc_lo
	s_delay_alu instid0(VALU_DEP_2) | instskip(SKIP_1) | instid1(VALU_DEP_2)
	v_add_co_u32 v28, vcc_lo, v30, v28
	s_wait_alu 0xfffd
	v_add_co_ci_u32_e32 v29, vcc_lo, v31, v29, vcc_lo
	s_clause 0x6
	global_store_b128 v[28:29], v[0:3], off
	global_store_b128 v[28:29], v[24:27], off offset:3920
	global_store_b128 v[28:29], v[20:23], off offset:7840
	;; [unrolled: 1-line block ×6, first 2 shown]
.LBB0_21:
	s_nop 0
	s_sendmsg sendmsg(MSG_DEALLOC_VGPRS)
	s_endpgm
	.section	.rodata,"a",@progbits
	.p2align	6, 0x0
	.amdhsa_kernel fft_rtc_back_len1715_factors_5_7_7_7_wgs_245_tpt_245_halfLds_dp_op_CI_CI_unitstride_sbrr_dirReg
		.amdhsa_group_segment_fixed_size 0
		.amdhsa_private_segment_fixed_size 0
		.amdhsa_kernarg_size 104
		.amdhsa_user_sgpr_count 2
		.amdhsa_user_sgpr_dispatch_ptr 0
		.amdhsa_user_sgpr_queue_ptr 0
		.amdhsa_user_sgpr_kernarg_segment_ptr 1
		.amdhsa_user_sgpr_dispatch_id 0
		.amdhsa_user_sgpr_private_segment_size 0
		.amdhsa_wavefront_size32 1
		.amdhsa_uses_dynamic_stack 0
		.amdhsa_enable_private_segment 0
		.amdhsa_system_sgpr_workgroup_id_x 1
		.amdhsa_system_sgpr_workgroup_id_y 0
		.amdhsa_system_sgpr_workgroup_id_z 0
		.amdhsa_system_sgpr_workgroup_info 0
		.amdhsa_system_vgpr_workitem_id 0
		.amdhsa_next_free_vgpr 79
		.amdhsa_next_free_sgpr 39
		.amdhsa_reserve_vcc 1
		.amdhsa_float_round_mode_32 0
		.amdhsa_float_round_mode_16_64 0
		.amdhsa_float_denorm_mode_32 3
		.amdhsa_float_denorm_mode_16_64 3
		.amdhsa_fp16_overflow 0
		.amdhsa_workgroup_processor_mode 1
		.amdhsa_memory_ordered 1
		.amdhsa_forward_progress 0
		.amdhsa_round_robin_scheduling 0
		.amdhsa_exception_fp_ieee_invalid_op 0
		.amdhsa_exception_fp_denorm_src 0
		.amdhsa_exception_fp_ieee_div_zero 0
		.amdhsa_exception_fp_ieee_overflow 0
		.amdhsa_exception_fp_ieee_underflow 0
		.amdhsa_exception_fp_ieee_inexact 0
		.amdhsa_exception_int_div_zero 0
	.end_amdhsa_kernel
	.text
.Lfunc_end0:
	.size	fft_rtc_back_len1715_factors_5_7_7_7_wgs_245_tpt_245_halfLds_dp_op_CI_CI_unitstride_sbrr_dirReg, .Lfunc_end0-fft_rtc_back_len1715_factors_5_7_7_7_wgs_245_tpt_245_halfLds_dp_op_CI_CI_unitstride_sbrr_dirReg
                                        ; -- End function
	.section	.AMDGPU.csdata,"",@progbits
; Kernel info:
; codeLenInByte = 6320
; NumSgprs: 41
; NumVgprs: 79
; ScratchSize: 0
; MemoryBound: 1
; FloatMode: 240
; IeeeMode: 1
; LDSByteSize: 0 bytes/workgroup (compile time only)
; SGPRBlocks: 5
; VGPRBlocks: 9
; NumSGPRsForWavesPerEU: 41
; NumVGPRsForWavesPerEU: 79
; Occupancy: 16
; WaveLimiterHint : 1
; COMPUTE_PGM_RSRC2:SCRATCH_EN: 0
; COMPUTE_PGM_RSRC2:USER_SGPR: 2
; COMPUTE_PGM_RSRC2:TRAP_HANDLER: 0
; COMPUTE_PGM_RSRC2:TGID_X_EN: 1
; COMPUTE_PGM_RSRC2:TGID_Y_EN: 0
; COMPUTE_PGM_RSRC2:TGID_Z_EN: 0
; COMPUTE_PGM_RSRC2:TIDIG_COMP_CNT: 0
	.text
	.p2alignl 7, 3214868480
	.fill 96, 4, 3214868480
	.type	__hip_cuid_ece55641abd58a1f,@object ; @__hip_cuid_ece55641abd58a1f
	.section	.bss,"aw",@nobits
	.globl	__hip_cuid_ece55641abd58a1f
__hip_cuid_ece55641abd58a1f:
	.byte	0                               ; 0x0
	.size	__hip_cuid_ece55641abd58a1f, 1

	.ident	"AMD clang version 19.0.0git (https://github.com/RadeonOpenCompute/llvm-project roc-6.4.0 25133 c7fe45cf4b819c5991fe208aaa96edf142730f1d)"
	.section	".note.GNU-stack","",@progbits
	.addrsig
	.addrsig_sym __hip_cuid_ece55641abd58a1f
	.amdgpu_metadata
---
amdhsa.kernels:
  - .args:
      - .actual_access:  read_only
        .address_space:  global
        .offset:         0
        .size:           8
        .value_kind:     global_buffer
      - .offset:         8
        .size:           8
        .value_kind:     by_value
      - .actual_access:  read_only
        .address_space:  global
        .offset:         16
        .size:           8
        .value_kind:     global_buffer
      - .actual_access:  read_only
        .address_space:  global
        .offset:         24
        .size:           8
        .value_kind:     global_buffer
      - .actual_access:  read_only
        .address_space:  global
        .offset:         32
        .size:           8
        .value_kind:     global_buffer
      - .offset:         40
        .size:           8
        .value_kind:     by_value
      - .actual_access:  read_only
        .address_space:  global
        .offset:         48
        .size:           8
        .value_kind:     global_buffer
      - .actual_access:  read_only
        .address_space:  global
        .offset:         56
        .size:           8
        .value_kind:     global_buffer
      - .offset:         64
        .size:           4
        .value_kind:     by_value
      - .actual_access:  read_only
        .address_space:  global
        .offset:         72
        .size:           8
        .value_kind:     global_buffer
      - .actual_access:  read_only
        .address_space:  global
        .offset:         80
        .size:           8
        .value_kind:     global_buffer
      - .actual_access:  read_only
        .address_space:  global
        .offset:         88
        .size:           8
        .value_kind:     global_buffer
      - .actual_access:  write_only
        .address_space:  global
        .offset:         96
        .size:           8
        .value_kind:     global_buffer
    .group_segment_fixed_size: 0
    .kernarg_segment_align: 8
    .kernarg_segment_size: 104
    .language:       OpenCL C
    .language_version:
      - 2
      - 0
    .max_flat_workgroup_size: 245
    .name:           fft_rtc_back_len1715_factors_5_7_7_7_wgs_245_tpt_245_halfLds_dp_op_CI_CI_unitstride_sbrr_dirReg
    .private_segment_fixed_size: 0
    .sgpr_count:     41
    .sgpr_spill_count: 0
    .symbol:         fft_rtc_back_len1715_factors_5_7_7_7_wgs_245_tpt_245_halfLds_dp_op_CI_CI_unitstride_sbrr_dirReg.kd
    .uniform_work_group_size: 1
    .uses_dynamic_stack: false
    .vgpr_count:     79
    .vgpr_spill_count: 0
    .wavefront_size: 32
    .workgroup_processor_mode: 1
amdhsa.target:   amdgcn-amd-amdhsa--gfx1201
amdhsa.version:
  - 1
  - 2
...

	.end_amdgpu_metadata
